;; amdgpu-corpus repo=ROCm/rocFFT kind=compiled arch=gfx906 opt=O3
	.text
	.amdgcn_target "amdgcn-amd-amdhsa--gfx906"
	.amdhsa_code_object_version 6
	.protected	fft_rtc_fwd_len224_factors_7_2_2_2_2_2_wgs_64_tpt_16_halfLds_half_op_CI_CI_unitstride_sbrr_dirReg ; -- Begin function fft_rtc_fwd_len224_factors_7_2_2_2_2_2_wgs_64_tpt_16_halfLds_half_op_CI_CI_unitstride_sbrr_dirReg
	.globl	fft_rtc_fwd_len224_factors_7_2_2_2_2_2_wgs_64_tpt_16_halfLds_half_op_CI_CI_unitstride_sbrr_dirReg
	.p2align	8
	.type	fft_rtc_fwd_len224_factors_7_2_2_2_2_2_wgs_64_tpt_16_halfLds_half_op_CI_CI_unitstride_sbrr_dirReg,@function
fft_rtc_fwd_len224_factors_7_2_2_2_2_2_wgs_64_tpt_16_halfLds_half_op_CI_CI_unitstride_sbrr_dirReg: ; @fft_rtc_fwd_len224_factors_7_2_2_2_2_2_wgs_64_tpt_16_halfLds_half_op_CI_CI_unitstride_sbrr_dirReg
; %bb.0:
	s_load_dwordx4 s[8:11], s[4:5], 0x58
	s_load_dwordx4 s[12:15], s[4:5], 0x0
	;; [unrolled: 1-line block ×3, first 2 shown]
	v_lshrrev_b32_e32 v17, 4, v0
	v_mov_b32_e32 v3, 0
	v_mov_b32_e32 v15, 0
	s_waitcnt lgkmcnt(0)
	v_cmp_lt_u64_e64 s[0:1], s[14:15], 2
	v_lshl_or_b32 v7, s6, 2, v17
	v_mov_b32_e32 v8, v3
	s_and_b64 vcc, exec, s[0:1]
	v_mov_b32_e32 v16, 0
	s_cbranch_vccnz .LBB0_8
; %bb.1:
	s_load_dwordx2 s[0:1], s[4:5], 0x10
	s_add_u32 s2, s18, 8
	s_addc_u32 s3, s19, 0
	s_add_u32 s6, s16, 8
	s_addc_u32 s7, s17, 0
	v_mov_b32_e32 v15, 0
	s_waitcnt lgkmcnt(0)
	s_add_u32 s20, s0, 8
	v_mov_b32_e32 v16, 0
	v_mov_b32_e32 v1, v15
	s_addc_u32 s21, s1, 0
	s_mov_b64 s[22:23], 1
	v_mov_b32_e32 v2, v16
.LBB0_2:                                ; =>This Inner Loop Header: Depth=1
	s_load_dwordx2 s[24:25], s[20:21], 0x0
                                        ; implicit-def: $vgpr5_vgpr6
	s_waitcnt lgkmcnt(0)
	v_or_b32_e32 v4, s25, v8
	v_cmp_ne_u64_e32 vcc, 0, v[3:4]
	s_and_saveexec_b64 s[0:1], vcc
	s_xor_b64 s[26:27], exec, s[0:1]
	s_cbranch_execz .LBB0_4
; %bb.3:                                ;   in Loop: Header=BB0_2 Depth=1
	v_cvt_f32_u32_e32 v4, s24
	v_cvt_f32_u32_e32 v5, s25
	s_sub_u32 s0, 0, s24
	s_subb_u32 s1, 0, s25
	v_mac_f32_e32 v4, 0x4f800000, v5
	v_rcp_f32_e32 v4, v4
	v_mul_f32_e32 v4, 0x5f7ffffc, v4
	v_mul_f32_e32 v5, 0x2f800000, v4
	v_trunc_f32_e32 v5, v5
	v_mac_f32_e32 v4, 0xcf800000, v5
	v_cvt_u32_f32_e32 v5, v5
	v_cvt_u32_f32_e32 v4, v4
	v_mul_lo_u32 v6, s0, v5
	v_mul_hi_u32 v9, s0, v4
	v_mul_lo_u32 v11, s1, v4
	v_mul_lo_u32 v10, s0, v4
	v_add_u32_e32 v6, v9, v6
	v_add_u32_e32 v6, v6, v11
	v_mul_hi_u32 v9, v4, v10
	v_mul_lo_u32 v11, v4, v6
	v_mul_hi_u32 v13, v4, v6
	v_mul_hi_u32 v12, v5, v10
	v_mul_lo_u32 v10, v5, v10
	v_mul_hi_u32 v14, v5, v6
	v_add_co_u32_e32 v9, vcc, v9, v11
	v_addc_co_u32_e32 v11, vcc, 0, v13, vcc
	v_mul_lo_u32 v6, v5, v6
	v_add_co_u32_e32 v9, vcc, v9, v10
	v_addc_co_u32_e32 v9, vcc, v11, v12, vcc
	v_addc_co_u32_e32 v10, vcc, 0, v14, vcc
	v_add_co_u32_e32 v6, vcc, v9, v6
	v_addc_co_u32_e32 v9, vcc, 0, v10, vcc
	v_add_co_u32_e32 v4, vcc, v4, v6
	v_addc_co_u32_e32 v5, vcc, v5, v9, vcc
	v_mul_lo_u32 v6, s0, v5
	v_mul_hi_u32 v9, s0, v4
	v_mul_lo_u32 v10, s1, v4
	v_mul_lo_u32 v11, s0, v4
	v_add_u32_e32 v6, v9, v6
	v_add_u32_e32 v6, v6, v10
	v_mul_lo_u32 v12, v4, v6
	v_mul_hi_u32 v13, v4, v11
	v_mul_hi_u32 v14, v4, v6
	v_mul_hi_u32 v10, v5, v11
	v_mul_lo_u32 v11, v5, v11
	v_mul_hi_u32 v9, v5, v6
	v_add_co_u32_e32 v12, vcc, v13, v12
	v_addc_co_u32_e32 v13, vcc, 0, v14, vcc
	v_mul_lo_u32 v6, v5, v6
	v_add_co_u32_e32 v11, vcc, v12, v11
	v_addc_co_u32_e32 v10, vcc, v13, v10, vcc
	v_addc_co_u32_e32 v9, vcc, 0, v9, vcc
	v_add_co_u32_e32 v6, vcc, v10, v6
	v_addc_co_u32_e32 v9, vcc, 0, v9, vcc
	v_add_co_u32_e32 v6, vcc, v4, v6
	v_addc_co_u32_e32 v9, vcc, v5, v9, vcc
	v_mad_u64_u32 v[4:5], s[0:1], v7, v9, 0
	v_mul_hi_u32 v10, v7, v6
	v_add_co_u32_e32 v11, vcc, v10, v4
	v_addc_co_u32_e32 v12, vcc, 0, v5, vcc
	v_mad_u64_u32 v[4:5], s[0:1], v8, v6, 0
	v_mad_u64_u32 v[9:10], s[0:1], v8, v9, 0
	v_add_co_u32_e32 v4, vcc, v11, v4
	v_addc_co_u32_e32 v4, vcc, v12, v5, vcc
	v_addc_co_u32_e32 v5, vcc, 0, v10, vcc
	v_add_co_u32_e32 v9, vcc, v4, v9
	v_addc_co_u32_e32 v6, vcc, 0, v5, vcc
	v_mul_lo_u32 v10, s25, v9
	v_mul_lo_u32 v11, s24, v6
	v_mad_u64_u32 v[4:5], s[0:1], s24, v9, 0
	v_add3_u32 v5, v5, v11, v10
	v_sub_u32_e32 v10, v8, v5
	v_mov_b32_e32 v11, s25
	v_sub_co_u32_e32 v4, vcc, v7, v4
	v_subb_co_u32_e64 v10, s[0:1], v10, v11, vcc
	v_subrev_co_u32_e64 v11, s[0:1], s24, v4
	v_subbrev_co_u32_e64 v10, s[0:1], 0, v10, s[0:1]
	v_cmp_le_u32_e64 s[0:1], s25, v10
	v_cndmask_b32_e64 v12, 0, -1, s[0:1]
	v_cmp_le_u32_e64 s[0:1], s24, v11
	v_cndmask_b32_e64 v11, 0, -1, s[0:1]
	v_cmp_eq_u32_e64 s[0:1], s25, v10
	v_cndmask_b32_e64 v10, v12, v11, s[0:1]
	v_add_co_u32_e64 v11, s[0:1], 2, v9
	v_addc_co_u32_e64 v12, s[0:1], 0, v6, s[0:1]
	v_add_co_u32_e64 v13, s[0:1], 1, v9
	v_addc_co_u32_e64 v14, s[0:1], 0, v6, s[0:1]
	v_subb_co_u32_e32 v5, vcc, v8, v5, vcc
	v_cmp_ne_u32_e64 s[0:1], 0, v10
	v_cmp_le_u32_e32 vcc, s25, v5
	v_cndmask_b32_e64 v10, v14, v12, s[0:1]
	v_cndmask_b32_e64 v12, 0, -1, vcc
	v_cmp_le_u32_e32 vcc, s24, v4
	v_cndmask_b32_e64 v4, 0, -1, vcc
	v_cmp_eq_u32_e32 vcc, s25, v5
	v_cndmask_b32_e32 v4, v12, v4, vcc
	v_cmp_ne_u32_e32 vcc, 0, v4
	v_cndmask_b32_e64 v4, v13, v11, s[0:1]
	v_cndmask_b32_e32 v6, v6, v10, vcc
	v_cndmask_b32_e32 v5, v9, v4, vcc
.LBB0_4:                                ;   in Loop: Header=BB0_2 Depth=1
	s_andn2_saveexec_b64 s[0:1], s[26:27]
	s_cbranch_execz .LBB0_6
; %bb.5:                                ;   in Loop: Header=BB0_2 Depth=1
	v_cvt_f32_u32_e32 v4, s24
	s_sub_i32 s26, 0, s24
	v_rcp_iflag_f32_e32 v4, v4
	v_mul_f32_e32 v4, 0x4f7ffffe, v4
	v_cvt_u32_f32_e32 v4, v4
	v_mul_lo_u32 v5, s26, v4
	v_mul_hi_u32 v5, v4, v5
	v_add_u32_e32 v4, v4, v5
	v_mul_hi_u32 v4, v7, v4
	v_mul_lo_u32 v5, v4, s24
	v_add_u32_e32 v6, 1, v4
	v_sub_u32_e32 v5, v7, v5
	v_subrev_u32_e32 v9, s24, v5
	v_cmp_le_u32_e32 vcc, s24, v5
	v_cndmask_b32_e32 v5, v5, v9, vcc
	v_cndmask_b32_e32 v4, v4, v6, vcc
	v_add_u32_e32 v6, 1, v4
	v_cmp_le_u32_e32 vcc, s24, v5
	v_cndmask_b32_e32 v5, v4, v6, vcc
	v_mov_b32_e32 v6, v3
.LBB0_6:                                ;   in Loop: Header=BB0_2 Depth=1
	s_or_b64 exec, exec, s[0:1]
	v_mul_lo_u32 v4, v6, s24
	v_mul_lo_u32 v11, v5, s25
	v_mad_u64_u32 v[9:10], s[0:1], v5, s24, 0
	s_load_dwordx2 s[0:1], s[6:7], 0x0
	s_load_dwordx2 s[24:25], s[2:3], 0x0
	v_add3_u32 v4, v10, v11, v4
	v_sub_co_u32_e32 v7, vcc, v7, v9
	v_subb_co_u32_e32 v4, vcc, v8, v4, vcc
	s_waitcnt lgkmcnt(0)
	v_mul_lo_u32 v8, s0, v4
	v_mul_lo_u32 v9, s1, v7
	v_mad_u64_u32 v[15:16], s[0:1], s0, v7, v[15:16]
	s_add_u32 s22, s22, 1
	s_addc_u32 s23, s23, 0
	s_add_u32 s2, s2, 8
	v_mul_lo_u32 v4, s24, v4
	v_mul_lo_u32 v10, s25, v7
	v_mad_u64_u32 v[1:2], s[0:1], s24, v7, v[1:2]
	v_add3_u32 v16, v9, v16, v8
	s_addc_u32 s3, s3, 0
	v_mov_b32_e32 v7, s14
	s_add_u32 s6, s6, 8
	v_mov_b32_e32 v8, s15
	s_addc_u32 s7, s7, 0
	v_cmp_ge_u64_e32 vcc, s[22:23], v[7:8]
	s_add_u32 s20, s20, 8
	v_add3_u32 v2, v10, v2, v4
	s_addc_u32 s21, s21, 0
	s_cbranch_vccnz .LBB0_9
; %bb.7:                                ;   in Loop: Header=BB0_2 Depth=1
	v_mov_b32_e32 v8, v6
	v_mov_b32_e32 v7, v5
	s_branch .LBB0_2
.LBB0_8:
	v_mov_b32_e32 v1, v15
	v_mov_b32_e32 v5, v7
	;; [unrolled: 1-line block ×4, first 2 shown]
.LBB0_9:
	s_load_dwordx2 s[0:1], s[4:5], 0x28
	s_lshl_b64 s[6:7], s[14:15], 3
	s_add_u32 s2, s18, s6
	s_addc_u32 s3, s19, s7
	v_and_b32_e32 v3, 15, v0
	s_waitcnt lgkmcnt(0)
	v_cmp_gt_u64_e32 vcc, s[0:1], v[5:6]
	v_cmp_le_u64_e64 s[0:1], s[0:1], v[5:6]
                                        ; implicit-def: $sgpr14
                                        ; implicit-def: $vgpr11
                                        ; implicit-def: $vgpr13
                                        ; implicit-def: $vgpr7
                                        ; implicit-def: $vgpr8
                                        ; implicit-def: $vgpr9
                                        ; implicit-def: $vgpr10
	s_and_saveexec_b64 s[4:5], s[0:1]
	s_xor_b64 s[0:1], exec, s[4:5]
; %bb.10:
	v_and_b32_e32 v3, 15, v0
	v_mov_b32_e32 v4, 0
	v_or_b32_e32 v11, 16, v3
	v_or_b32_e32 v13, 32, v3
	;; [unrolled: 1-line block ×6, first 2 shown]
	s_mov_b32 s14, 0
	v_mov_b32_e32 v12, v4
	v_mov_b32_e32 v14, v4
                                        ; implicit-def: $vgpr15_vgpr16
; %bb.11:
	s_or_saveexec_b64 s[4:5], s[0:1]
	v_mov_b32_e32 v18, s14
	v_mov_b32_e32 v0, s14
	v_mov_b32_e32 v43, s14
	v_mov_b32_e32 v42, s14
	v_mov_b32_e32 v24, s14
	v_mov_b32_e32 v44, s14
	v_mov_b32_e32 v25, s14
	v_mov_b32_e32 v20, s14
                                        ; implicit-def: $vgpr21
                                        ; implicit-def: $vgpr19
                                        ; implicit-def: $vgpr45
                                        ; implicit-def: $vgpr41
                                        ; implicit-def: $vgpr46
                                        ; implicit-def: $vgpr47
                                        ; implicit-def: $vgpr22
                                        ; implicit-def: $vgpr23
	s_xor_b64 exec, exec, s[4:5]
	s_cbranch_execz .LBB0_13
; %bb.12:
	s_add_u32 s0, s16, s6
	s_addc_u32 s1, s17, s7
	s_load_dwordx2 s[0:1], s[0:1], 0x0
	v_mov_b32_e32 v11, s9
	v_lshlrev_b64 v[9:10], 2, v[15:16]
	v_or_b32_e32 v13, 32, v3
	s_waitcnt lgkmcnt(0)
	v_mul_lo_u32 v0, s1, v5
	v_mul_lo_u32 v4, s0, v6
	v_mad_u64_u32 v[7:8], s[0:1], s0, v5, 0
	v_add3_u32 v8, v8, v4, v0
	v_lshlrev_b64 v[7:8], 2, v[7:8]
	v_add_co_u32_e64 v0, s[0:1], s8, v7
	v_addc_co_u32_e64 v4, s[0:1], v11, v8, s[0:1]
	v_add_co_u32_e64 v0, s[0:1], v0, v9
	v_addc_co_u32_e64 v4, s[0:1], v4, v10, s[0:1]
	v_lshlrev_b32_e32 v7, 2, v3
	v_add_co_u32_e64 v7, s[0:1], v0, v7
	v_addc_co_u32_e64 v8, s[0:1], 0, v4, s[0:1]
	global_load_dword v0, v[7:8], off
	global_load_dword v25, v[7:8], off offset:512
	global_load_dword v15, v[7:8], off offset:640
	;; [unrolled: 1-line block ×13, first 2 shown]
	v_mov_b32_e32 v4, 0
	s_mov_b32 s0, 0x5040100
	s_mov_b32 s1, 0x7060302
	v_or_b32_e32 v8, 64, v3
	v_or_b32_e32 v10, 0x60, v3
	;; [unrolled: 1-line block ×5, first 2 shown]
	v_mov_b32_e32 v14, v4
	v_mov_b32_e32 v12, v4
	s_waitcnt vmcnt(11)
	v_lshrrev_b32_e32 v21, 16, v15
	s_waitcnt vmcnt(8)
	v_lshrrev_b32_e32 v45, 16, v16
	s_waitcnt vmcnt(7)
	v_perm_b32 v46, v16, v22, s0
	v_perm_b32 v47, v41, v22, s1
	s_waitcnt vmcnt(6)
	v_perm_b32 v22, v15, v23, s0
	v_perm_b32 v23, v19, v23, s1
.LBB0_13:
	s_or_b64 exec, exec, s[4:5]
	s_mov_b32 s5, 0x5040100
	s_waitcnt vmcnt(4)
	v_perm_b32 v16, v20, v25, s5
	s_waitcnt vmcnt(2)
	v_add_f16_e32 v15, v19, v18
	v_pk_add_f16 v26, v22, v16
	s_mov_b32 s6, 0x7060302
	v_add_f16_sdwa v27, v15, v26 dst_sel:DWORD dst_unused:UNUSED_PAD src0_sel:DWORD src1_sel:WORD_1
	v_sub_f16_e32 v28, v15, v26
	v_alignbit_b32 v15, v15, v26, 16
	v_perm_b32 v30, v18, v25, s6
	v_pk_add_f16 v15, v26, v15 neg_lo:[0,1] neg_hi:[0,1]
	v_add_f16_e32 v26, v27, v26
	v_sub_f16_sdwa v25, v20, v21 dst_sel:DWORD dst_unused:UNUSED_PAD src0_sel:WORD_1 src1_sel:DWORD
	v_pk_add_f16 v27, v30, v23 neg_lo:[0,1] neg_hi:[0,1]
	v_pack_b32_f16 v29, v25, v27
	v_add_f16_e32 v31, v25, v27
	s_mov_b32 s7, 0x39e02b26
	v_pk_add_f16 v29, v27, v29 neg_lo:[0,1] neg_hi:[0,1]
	v_sub_f16_sdwa v25, v25, v27 dst_sel:DWORD dst_unused:UNUSED_PAD src0_sel:DWORD src1_sel:WORD_1
	v_add_f16_sdwa v31, v27, v31 dst_sel:DWORD dst_unused:UNUSED_PAD src0_sel:WORD_1 src1_sel:DWORD
	v_mul_f16_e32 v27, 0xba52, v28
	v_pk_mul_f16 v32, v15, s7
	v_alignbit_b32 v27, v27, v32, 16
	s_mov_b32 s8, 0x3574b846
	v_mul_f16_e32 v25, 0x3b00, v25
	s_mov_b32 s4, 0xbcab
	v_add_f16_e32 v33, v26, v0
	v_pk_fma_f16 v15, v15, s7, v27 neg_lo:[1,0,0] neg_hi:[1,0,0]
	v_pk_fma_f16 v25, v29, s8, v25 op_sel_hi:[1,1,0] neg_lo:[1,0,0] neg_hi:[1,0,1]
	v_mul_f16_e32 v27, 0x370e, v31
	v_fma_f16 v34, v26, s4, v33
	v_pk_add_f16 v25, v25, v27 op_sel_hi:[1,0]
	v_pk_add_f16 v15, v15, v34 op_sel_hi:[1,0]
	v_pk_add_f16 v26, v15, v25
	v_pk_add_f16 v15, v15, v25 neg_lo:[0,1] neg_hi:[0,1]
	s_mov_b32 s9, 0xffff
	s_movk_i32 s0, 0x3a52
	v_pk_mul_f16 v25, v29, s8
	v_bfi_b32 v27, s9, v26, v15
	v_alignbit_b32 v26, v15, v26, 16
	v_fma_f16 v15, v28, s0, v32
	s_movk_i32 s1, 0x370e
	v_add_f16_sdwa v25, v25, v25 dst_sel:DWORD dst_unused:UNUSED_PAD src0_sel:WORD_1 src1_sel:DWORD
	v_mul_u32_u24_e32 v17, 0xe0, v17
	v_add_f16_e32 v15, v15, v34
	v_fma_f16 v31, v31, s1, v25
	v_lshlrev_b32_e32 v28, 1, v17
	v_add_f16_e32 v25, v15, v31
	v_add_u32_e32 v29, 0, v28
	v_pack_b32_f16 v25, v33, v25
	v_mad_u32_u24 v51, v3, 14, v29
	s_waitcnt vmcnt(0)
	v_perm_b32 v52, v44, v24, s5
	ds_write_b96 v51, v[25:27]
	v_add_f16_e32 v17, v41, v43
	v_pk_add_f16 v25, v46, v52
	v_add_f16_sdwa v26, v17, v25 dst_sel:DWORD dst_unused:UNUSED_PAD src0_sel:DWORD src1_sel:WORD_1
	v_sub_f16_e32 v27, v17, v25
	v_alignbit_b32 v17, v17, v25, 16
	v_perm_b32 v53, v43, v24, s6
	v_pk_add_f16 v17, v25, v17 neg_lo:[0,1] neg_hi:[0,1]
	v_add_f16_e32 v25, v26, v25
	v_sub_f16_sdwa v24, v44, v45 dst_sel:DWORD dst_unused:UNUSED_PAD src0_sel:WORD_1 src1_sel:DWORD
	v_pk_add_f16 v26, v53, v47 neg_lo:[0,1] neg_hi:[0,1]
	v_pack_b32_f16 v32, v24, v26
	v_add_f16_e32 v33, v24, v26
	v_pk_add_f16 v32, v26, v32 neg_lo:[0,1] neg_hi:[0,1]
	v_sub_f16_sdwa v24, v24, v26 dst_sel:DWORD dst_unused:UNUSED_PAD src0_sel:DWORD src1_sel:WORD_1
	v_add_f16_sdwa v33, v26, v33 dst_sel:DWORD dst_unused:UNUSED_PAD src0_sel:WORD_1 src1_sel:DWORD
	v_pk_mul_f16 v34, v17, s7
	v_mul_f16_e32 v26, 0xba52, v27
	v_alignbit_b32 v26, v26, v34, 16
	v_mul_f16_e32 v24, 0x3b00, v24
	v_add_f16_e32 v35, v25, v42
	v_pk_fma_f16 v17, v17, s7, v26 neg_lo:[1,0,0] neg_hi:[1,0,0]
	v_pk_fma_f16 v24, v32, s8, v24 op_sel_hi:[1,1,0] neg_lo:[1,0,0] neg_hi:[1,0,1]
	v_mul_f16_e32 v26, 0x370e, v33
	v_fma_f16 v36, v25, s4, v35
	v_pk_add_f16 v24, v24, v26 op_sel_hi:[1,0]
	v_pk_add_f16 v17, v17, v36 op_sel_hi:[1,0]
	v_pk_add_f16 v25, v17, v24
	v_pk_add_f16 v17, v17, v24 neg_lo:[0,1] neg_hi:[0,1]
	v_pk_mul_f16 v24, v32, s8
	v_bfi_b32 v26, s9, v25, v17
	v_alignbit_b32 v25, v17, v25, 16
	v_fma_f16 v17, v27, s0, v34
	v_add_f16_sdwa v24, v24, v24 dst_sel:DWORD dst_unused:UNUSED_PAD src0_sel:WORD_1 src1_sel:DWORD
	v_add_f16_e32 v17, v17, v36
	v_fma_f16 v27, v33, s1, v24
	v_add_f16_e32 v24, v17, v27
	v_sub_f16_e32 v15, v15, v31
	v_pk_add_f16 v16, v16, v22 neg_lo:[0,1] neg_hi:[0,1]
	v_pack_b32_f16 v24, v35, v24
	ds_write_b16 v51, v15 offset:12
	v_mad_i32_i24 v15, v11, 14, v29
	v_sub_f16_e32 v18, v18, v19
	v_add_f16_sdwa v19, v21, v20 dst_sel:DWORD dst_unused:UNUSED_PAD src0_sel:DWORD src1_sel:WORD_1
	v_pk_add_f16 v20, v23, v30
	v_add_f16_sdwa v23, v16, v16 dst_sel:DWORD dst_unused:UNUSED_PAD src0_sel:WORD_1 src1_sel:DWORD
	ds_write_b96 v15, v[24:26]
	v_add_f16_sdwa v21, v20, v19 dst_sel:DWORD dst_unused:UNUSED_PAD src0_sel:WORD_1 src1_sel:DWORD
	v_add_f16_e32 v23, v18, v23
	v_sub_f16_e32 v24, v18, v16
	v_sub_f16_sdwa v18, v16, v18 dst_sel:DWORD dst_unused:UNUSED_PAD src0_sel:WORD_1 src1_sel:DWORD
	v_sub_f16_sdwa v16, v16, v16 dst_sel:DWORD dst_unused:UNUSED_PAD src0_sel:DWORD src1_sel:WORD_1
	v_sub_f16_sdwa v22, v19, v20 dst_sel:DWORD dst_unused:UNUSED_PAD src0_sel:DWORD src1_sel:WORD_1
	v_sub_f16_e32 v19, v20, v19
	v_add_f16_e32 v21, v21, v20
	v_sub_f16_sdwa v20, v20, v20 dst_sel:DWORD dst_unused:UNUSED_PAD src0_sel:WORD_1 src1_sel:DWORD
	v_mul_f16_e32 v16, 0xb846, v16
	s_movk_i32 s5, 0x3b00
	v_add_f16_sdwa v0, v21, v0 dst_sel:DWORD dst_unused:UNUSED_PAD src0_sel:DWORD src1_sel:WORD_1
	v_mul_f16_e32 v19, 0x2b26, v19
	s_movk_i32 s6, 0x39e0
	s_mov_b32 s7, 0xb9e0
	v_mul_f16_e32 v25, 0x3a52, v20
	v_fma_f16 v26, v18, s5, -v16
	v_mul_f16_e32 v18, 0x3b00, v18
	s_mov_b32 s8, 0xb574
	v_fma_f16 v21, v21, s4, v0
	v_fma_f16 v25, v22, s7, -v25
	v_fma_f16 v22, v22, s6, -v19
	;; [unrolled: 1-line block ×3, first 2 shown]
	v_add_f16_e32 v22, v22, v21
	v_fma_f16 v26, v23, s1, v26
	v_add_f16_e32 v25, v25, v21
	v_fma_f16 v18, v23, s1, v18
	v_add_f16_e32 v30, v26, v22
	v_sub_f16_e32 v22, v22, v26
	v_sub_f16_e32 v26, v25, v18
	v_add_f16_e32 v18, v18, v25
	s_movk_i32 s9, 0x3574
	v_pack_b32_f16 v50, v22, v18
	v_fma_f16 v18, v20, s0, v19
	v_fma_f16 v16, v24, s9, v16
	v_add_f16_e32 v54, v18, v21
	v_fma_f16 v16, v23, s1, v16
	v_sub_f16_e32 v18, v54, v16
	v_pack_b32_f16 v49, v26, v30
	v_pack_b32_f16 v48, v0, v18
	v_sub_f16_e32 v0, v17, v27
	v_lshlrev_b32_e32 v30, 1, v3
	v_mad_i32_i24 v22, v11, -12, v15
	v_add_f16_e32 v16, v16, v54
	ds_write_b16 v15, v0 offset:12
	s_load_dwordx2 s[2:3], s[2:3], 0x0
	s_waitcnt lgkmcnt(0)
	; wave barrier
	s_waitcnt lgkmcnt(0)
	v_add_u32_e32 v0, v29, v30
	v_mad_i32_i24 v21, v3, -12, v51
	v_lshl_add_u32 v23, v13, 1, v29
	v_lshl_add_u32 v24, v7, 1, v29
	;; [unrolled: 1-line block ×5, first 2 shown]
	ds_read_u16 v32, v22
	ds_read_u16 v31, v23
	;; [unrolled: 1-line block ×7, first 2 shown]
	ds_read_u16 v40, v21 offset:224
	ds_read_u16 v39, v21 offset:256
	;; [unrolled: 1-line block ×7, first 2 shown]
	s_waitcnt lgkmcnt(0)
	; wave barrier
	s_waitcnt lgkmcnt(0)
	ds_write_b16 v51, v16 offset:12
	v_sub_f16_e32 v16, v43, v41
	v_add_f16_sdwa v41, v45, v44 dst_sel:DWORD dst_unused:UNUSED_PAD src0_sel:DWORD src1_sel:WORD_1
	v_pk_add_f16 v43, v47, v53
	v_pk_add_f16 v44, v52, v46 neg_lo:[0,1] neg_hi:[0,1]
	v_add_f16_sdwa v45, v43, v41 dst_sel:DWORD dst_unused:UNUSED_PAD src0_sel:WORD_1 src1_sel:DWORD
	v_sub_f16_sdwa v46, v41, v43 dst_sel:DWORD dst_unused:UNUSED_PAD src0_sel:DWORD src1_sel:WORD_1
	v_sub_f16_e32 v41, v43, v41
	v_add_f16_e32 v45, v45, v43
	v_sub_f16_sdwa v47, v43, v43 dst_sel:DWORD dst_unused:UNUSED_PAD src0_sel:WORD_1 src1_sel:DWORD
	v_add_f16_sdwa v43, v44, v44 dst_sel:DWORD dst_unused:UNUSED_PAD src0_sel:WORD_1 src1_sel:DWORD
	ds_write_b96 v51, v[48:50]
	v_add_f16_e32 v48, v16, v43
	v_sub_f16_sdwa v43, v44, v44 dst_sel:DWORD dst_unused:UNUSED_PAD src0_sel:DWORD src1_sel:WORD_1
	v_sub_f16_e32 v49, v16, v44
	v_sub_f16_sdwa v16, v44, v16 dst_sel:DWORD dst_unused:UNUSED_PAD src0_sel:WORD_1 src1_sel:DWORD
	v_mul_f16_e32 v41, 0x2b26, v41
	v_mul_f16_e32 v50, 0xb846, v43
	;; [unrolled: 1-line block ×3, first 2 shown]
	v_add_f16_sdwa v42, v45, v42 dst_sel:DWORD dst_unused:UNUSED_PAD src0_sel:DWORD src1_sel:WORD_1
	v_fma_f16 v43, v46, s7, -v43
	v_fma_f16 v44, v46, s6, -v41
	;; [unrolled: 1-line block ×3, first 2 shown]
	v_mul_f16_e32 v16, 0x3b00, v16
	v_fma_f16 v45, v45, s4, v42
	v_fma_f16 v16, v49, s8, -v16
	v_add_f16_e32 v44, v44, v45
	v_fma_f16 v46, v48, s1, v46
	v_add_f16_e32 v43, v43, v45
	v_fma_f16 v16, v48, s1, v16
	v_add_f16_e32 v51, v46, v44
	v_sub_f16_e32 v44, v44, v46
	v_sub_f16_e32 v46, v43, v16
	v_add_f16_e32 v16, v16, v43
	v_pack_b32_f16 v44, v44, v16
	v_fma_f16 v16, v47, s0, v41
	v_fma_f16 v41, v49, s9, v50
	v_add_f16_e32 v16, v16, v45
	v_fma_f16 v41, v48, s1, v41
	v_sub_f16_e32 v45, v16, v41
	v_pack_b32_f16 v43, v46, v51
	v_pack_b32_f16 v42, v42, v45
	v_add_f16_e32 v16, v41, v16
	ds_write_b96 v15, v[42:44]
	ds_write_b16 v15, v16 offset:12
	v_mov_b32_e32 v15, 37
	v_mul_lo_u16_sdwa v16, v3, v15 dst_sel:DWORD dst_unused:UNUSED_PAD src0_sel:BYTE_0 src1_sel:DWORD
	v_sub_u16_sdwa v41, v3, v16 dst_sel:DWORD dst_unused:UNUSED_PAD src0_sel:DWORD src1_sel:BYTE_1
	v_lshrrev_b16_e32 v41, 1, v41
	v_and_b32_e32 v41, 0x7f, v41
	v_add_u16_sdwa v16, v41, v16 dst_sel:DWORD dst_unused:UNUSED_PAD src0_sel:DWORD src1_sel:BYTE_1
	v_mul_lo_u16_sdwa v41, v11, v15 dst_sel:DWORD dst_unused:UNUSED_PAD src0_sel:BYTE_0 src1_sel:DWORD
	v_sub_u16_sdwa v42, v11, v41 dst_sel:DWORD dst_unused:UNUSED_PAD src0_sel:DWORD src1_sel:BYTE_1
	v_lshrrev_b16_e32 v42, 1, v42
	v_and_b32_e32 v42, 0x7f, v42
	v_add_u16_sdwa v41, v42, v41 dst_sel:DWORD dst_unused:UNUSED_PAD src0_sel:DWORD src1_sel:BYTE_1
	v_mul_lo_u16_sdwa v42, v13, v15 dst_sel:DWORD dst_unused:UNUSED_PAD src0_sel:BYTE_0 src1_sel:DWORD
	v_sub_u16_sdwa v43, v13, v42 dst_sel:DWORD dst_unused:UNUSED_PAD src0_sel:DWORD src1_sel:BYTE_1
	v_lshrrev_b16_e32 v43, 1, v43
	v_and_b32_e32 v43, 0x7f, v43
	v_add_u16_sdwa v42, v43, v42 dst_sel:DWORD dst_unused:UNUSED_PAD src0_sel:DWORD src1_sel:BYTE_1
	v_mul_lo_u16_sdwa v43, v7, v15 dst_sel:DWORD dst_unused:UNUSED_PAD src0_sel:BYTE_0 src1_sel:DWORD
	v_sub_u16_sdwa v44, v7, v43 dst_sel:DWORD dst_unused:UNUSED_PAD src0_sel:DWORD src1_sel:BYTE_1
	v_lshrrev_b16_e32 v44, 1, v44
	v_and_b32_e32 v44, 0x7f, v44
	v_add_u16_sdwa v43, v44, v43 dst_sel:DWORD dst_unused:UNUSED_PAD src0_sel:DWORD src1_sel:BYTE_1
	v_mul_lo_u16_sdwa v44, v8, v15 dst_sel:DWORD dst_unused:UNUSED_PAD src0_sel:BYTE_0 src1_sel:DWORD
	v_sub_u16_sdwa v45, v8, v44 dst_sel:DWORD dst_unused:UNUSED_PAD src0_sel:DWORD src1_sel:BYTE_1
	v_lshrrev_b16_e32 v45, 1, v45
	v_and_b32_e32 v45, 0x7f, v45
	v_add_u16_sdwa v44, v45, v44 dst_sel:DWORD dst_unused:UNUSED_PAD src0_sel:DWORD src1_sel:BYTE_1
	v_mul_lo_u16_sdwa v45, v9, v15 dst_sel:DWORD dst_unused:UNUSED_PAD src0_sel:BYTE_0 src1_sel:DWORD
	v_sub_u16_sdwa v46, v9, v45 dst_sel:DWORD dst_unused:UNUSED_PAD src0_sel:DWORD src1_sel:BYTE_1
	v_lshrrev_b16_e32 v46, 1, v46
	v_and_b32_e32 v46, 0x7f, v46
	v_mul_lo_u16_sdwa v15, v10, v15 dst_sel:DWORD dst_unused:UNUSED_PAD src0_sel:BYTE_0 src1_sel:DWORD
	v_add_u16_sdwa v45, v46, v45 dst_sel:DWORD dst_unused:UNUSED_PAD src0_sel:DWORD src1_sel:BYTE_1
	v_sub_u16_sdwa v46, v10, v15 dst_sel:DWORD dst_unused:UNUSED_PAD src0_sel:DWORD src1_sel:BYTE_1
	v_lshrrev_b16_e32 v46, 1, v46
	v_and_b32_e32 v46, 0x7f, v46
	v_add_u16_sdwa v15, v46, v15 dst_sel:DWORD dst_unused:UNUSED_PAD src0_sel:DWORD src1_sel:BYTE_1
	v_lshrrev_b16_e32 v46, 2, v16
	v_lshrrev_b16_e32 v53, 2, v43
	v_mul_lo_u16_e32 v16, 7, v46
	v_lshrrev_b16_e32 v48, 2, v41
	v_mul_lo_u16_e32 v41, 7, v53
	v_lshrrev_b16_e32 v45, 2, v45
	v_sub_u16_e32 v47, v3, v16
	v_mul_lo_u16_e32 v16, 7, v48
	v_lshrrev_b16_e32 v50, 2, v42
	v_sub_u16_e32 v55, v7, v41
	v_mul_lo_u16_e32 v41, 7, v45
	v_sub_u16_e32 v49, v11, v16
	v_mul_lo_u16_e32 v16, 7, v50
	v_mov_b32_e32 v42, 2
	v_sub_u16_e32 v61, v9, v41
	v_sub_u16_e32 v51, v13, v16
	v_lshlrev_b32_sdwa v16, v42, v47 dst_sel:DWORD dst_unused:UNUSED_PAD src0_sel:DWORD src1_sel:BYTE_0
	v_lshrrev_b16_e32 v62, 2, v15
	v_lshlrev_b32_sdwa v15, v42, v61 dst_sel:DWORD dst_unused:UNUSED_PAD src0_sel:DWORD src1_sel:BYTE_0
	s_waitcnt lgkmcnt(0)
	; wave barrier
	s_waitcnt lgkmcnt(0)
	global_load_dword v52, v16, s[12:13]
	global_load_dword v63, v15, s[12:13]
	v_mul_lo_u16_e32 v15, 7, v62
	v_lshlrev_b32_sdwa v16, v42, v49 dst_sel:DWORD dst_unused:UNUSED_PAD src0_sel:DWORD src1_sel:BYTE_0
	v_sub_u16_e32 v64, v10, v15
	global_load_dword v54, v16, s[12:13]
	v_lshlrev_b32_sdwa v15, v42, v64 dst_sel:DWORD dst_unused:UNUSED_PAD src0_sel:DWORD src1_sel:BYTE_0
	global_load_dword v65, v15, s[12:13]
	v_lshrrev_b16_e32 v56, 2, v44
	v_lshlrev_b32_sdwa v16, v42, v51 dst_sel:DWORD dst_unused:UNUSED_PAD src0_sel:DWORD src1_sel:BYTE_0
	global_load_dword v57, v16, s[12:13]
	v_mul_lo_u16_e32 v16, 7, v56
	v_sub_u16_e32 v58, v8, v16
	v_lshlrev_b32_sdwa v16, v42, v55 dst_sel:DWORD dst_unused:UNUSED_PAD src0_sel:DWORD src1_sel:BYTE_0
	global_load_dword v59, v16, s[12:13]
	v_lshlrev_b32_sdwa v16, v42, v58 dst_sel:DWORD dst_unused:UNUSED_PAD src0_sel:DWORD src1_sel:BYTE_0
	global_load_dword v60, v16, s[12:13]
	ds_read_u16 v66, v21 offset:224
	ds_read_u16 v67, v21 offset:256
	;; [unrolled: 1-line block ×7, first 2 shown]
	ds_read_u16 v73, v0
	v_mad_u32_u24 v46, v46, 28, 0
	v_add_u32_e32 v15, -14, v3
	v_cmp_gt_u32_e64 s[0:1], 14, v3
	v_cndmask_b32_e64 v15, v15, v3, s[0:1]
	v_mov_b32_e32 v16, 0
	v_lshlrev_b64 v[43:44], 2, v[15:16]
	v_mov_b32_e32 v41, s13
	v_add_co_u32_e64 v43, s[0:1], s12, v43
	v_addc_co_u32_e64 v44, s[0:1], v41, v44, s[0:1]
	s_movk_i32 s4, 0x70
	s_waitcnt vmcnt(6) lgkmcnt(7)
	v_mul_f16_sdwa v74, v66, v52 dst_sel:DWORD dst_unused:UNUSED_PAD src0_sel:DWORD src1_sel:WORD_1
	v_fma_f16 v74, v40, v52, -v74
	v_mul_f16_sdwa v40, v40, v52 dst_sel:DWORD dst_unused:UNUSED_PAD src0_sel:DWORD src1_sel:WORD_1
	v_fma_f16 v40, v66, v52, v40
	s_waitcnt vmcnt(4) lgkmcnt(6)
	v_mul_f16_sdwa v52, v67, v54 dst_sel:DWORD dst_unused:UNUSED_PAD src0_sel:DWORD src1_sel:WORD_1
	v_fma_f16 v52, v39, v54, -v52
	v_mul_f16_sdwa v39, v39, v54 dst_sel:DWORD dst_unused:UNUSED_PAD src0_sel:DWORD src1_sel:WORD_1
	v_fma_f16 v39, v67, v54, v39
	;; [unrolled: 5-line block ×5, first 2 shown]
	s_waitcnt lgkmcnt(2)
	v_mul_f16_sdwa v60, v71, v63 dst_sel:DWORD dst_unused:UNUSED_PAD src0_sel:DWORD src1_sel:WORD_1
	v_fma_f16 v60, v35, v63, -v60
	v_mul_f16_sdwa v35, v35, v63 dst_sel:DWORD dst_unused:UNUSED_PAD src0_sel:DWORD src1_sel:WORD_1
	v_fma_f16 v35, v71, v63, v35
	s_waitcnt lgkmcnt(1)
	v_mul_f16_sdwa v63, v72, v65 dst_sel:DWORD dst_unused:UNUSED_PAD src0_sel:DWORD src1_sel:WORD_1
	v_fma_f16 v63, v34, v65, -v63
	v_mul_f16_sdwa v34, v34, v65 dst_sel:DWORD dst_unused:UNUSED_PAD src0_sel:DWORD src1_sel:WORD_1
	v_fma_f16 v65, v72, v65, v34
	v_mov_b32_e32 v34, 1
	v_lshlrev_b32_sdwa v47, v34, v47 dst_sel:DWORD dst_unused:UNUSED_PAD src0_sel:DWORD src1_sel:BYTE_0
	v_add3_u32 v46, v46, v47, v28
	v_sub_f16_e32 v47, v33, v74
	v_fma_f16 v33, v33, 2.0, -v47
	ds_read_u16 v66, v22
	ds_read_u16 v67, v23
	;; [unrolled: 1-line block ×6, first 2 shown]
	s_waitcnt lgkmcnt(0)
	; wave barrier
	s_waitcnt lgkmcnt(0)
	ds_write_b16 v46, v33
	ds_write_b16 v46, v47 offset:14
	v_mad_u32_u24 v33, v48, 28, 0
	v_lshlrev_b32_sdwa v47, v34, v49 dst_sel:DWORD dst_unused:UNUSED_PAD src0_sel:DWORD src1_sel:BYTE_0
	v_add3_u32 v33, v33, v47, v28
	v_sub_f16_e32 v47, v32, v52
	v_fma_f16 v32, v32, 2.0, -v47
	ds_write_b16 v33, v32
	ds_write_b16 v33, v47 offset:14
	v_mad_u32_u24 v32, v50, 28, 0
	v_lshlrev_b32_sdwa v47, v34, v51 dst_sel:DWORD dst_unused:UNUSED_PAD src0_sel:DWORD src1_sel:BYTE_0
	v_add3_u32 v32, v32, v47, v28
	v_sub_f16_e32 v47, v31, v54
	v_fma_f16 v31, v31, 2.0, -v47
	;; [unrolled: 7-line block ×6, first 2 shown]
	ds_write_b16 v18, v17
	ds_write_b16 v18, v45 offset:14
	v_sub_f16_e32 v17, v73, v40
	v_fma_f16 v40, v73, 2.0, -v17
	s_waitcnt lgkmcnt(0)
	; wave barrier
	s_waitcnt lgkmcnt(0)
	ds_read_u16 v45, v22
	ds_read_u16 v47, v23
	;; [unrolled: 1-line block ×7, first 2 shown]
	ds_read_u16 v53, v21 offset:224
	ds_read_u16 v54, v21 offset:256
	;; [unrolled: 1-line block ×7, first 2 shown]
	s_waitcnt lgkmcnt(0)
	; wave barrier
	s_waitcnt lgkmcnt(0)
	ds_write_b16 v46, v40
	ds_write_b16 v46, v17 offset:14
	v_sub_f16_e32 v17, v66, v39
	v_fma_f16 v39, v66, 2.0, -v17
	ds_write_b16 v33, v39
	ds_write_b16 v33, v17 offset:14
	v_sub_f16_e32 v17, v67, v38
	v_fma_f16 v33, v67, 2.0, -v17
	;; [unrolled: 4-line block ×6, first 2 shown]
	ds_write_b16 v18, v19
	ds_write_b16 v18, v17 offset:14
	v_lshrrev_b16_sdwa v17, v34, v13 dst_sel:DWORD dst_unused:UNUSED_PAD src0_sel:DWORD src1_sel:BYTE_0
	v_mul_lo_u16_e32 v17, 0x93, v17
	v_lshrrev_b16_e32 v31, 10, v17
	v_mul_lo_u16_e32 v17, 14, v31
	v_sub_u16_e32 v32, v13, v17
	v_lshrrev_b16_sdwa v17, v34, v11 dst_sel:DWORD dst_unused:UNUSED_PAD src0_sel:DWORD src1_sel:BYTE_0
	v_mul_lo_u16_e32 v17, 0x93, v17
	v_lshrrev_b16_e32 v33, 10, v17
	v_mul_lo_u16_e32 v17, 14, v33
	v_sub_u16_e32 v35, v11, v17
	;; [unrolled: 5-line block ×4, first 2 shown]
	v_lshlrev_b32_sdwa v17, v42, v35 dst_sel:DWORD dst_unused:UNUSED_PAD src0_sel:DWORD src1_sel:BYTE_0
	v_lshlrev_b32_sdwa v18, v42, v32 dst_sel:DWORD dst_unused:UNUSED_PAD src0_sel:DWORD src1_sel:BYTE_0
	s_waitcnt lgkmcnt(0)
	; wave barrier
	s_waitcnt lgkmcnt(0)
	global_load_dword v39, v[43:44], off offset:28
	v_lshlrev_b32_e32 v67, 1, v15
	global_load_dword v43, v17, s[12:13] offset:28
	global_load_dword v44, v18, s[12:13] offset:28
	v_lshrrev_b16_sdwa v17, v34, v9 dst_sel:DWORD dst_unused:UNUSED_PAD src0_sel:DWORD src1_sel:BYTE_0
	v_mul_lo_u16_e32 v17, 0x93, v17
	v_lshrrev_b16_e32 v46, 10, v17
	v_lshlrev_b32_sdwa v17, v42, v37 dst_sel:DWORD dst_unused:UNUSED_PAD src0_sel:DWORD src1_sel:BYTE_0
	v_mul_lo_u16_e32 v18, 14, v46
	global_load_dword v60, v17, s[12:13] offset:28
	v_sub_u16_e32 v61, v9, v18
	v_lshlrev_b32_sdwa v17, v42, v40 dst_sel:DWORD dst_unused:UNUSED_PAD src0_sel:DWORD src1_sel:BYTE_0
	v_lshrrev_b16_sdwa v18, v34, v10 dst_sel:DWORD dst_unused:UNUSED_PAD src0_sel:DWORD src1_sel:BYTE_0
	global_load_dword v62, v17, s[12:13] offset:28
	v_mul_lo_u16_e32 v17, 0x93, v18
	v_lshrrev_b16_e32 v63, 10, v17
	v_lshlrev_b32_sdwa v17, v42, v61 dst_sel:DWORD dst_unused:UNUSED_PAD src0_sel:DWORD src1_sel:BYTE_0
	global_load_dword v64, v17, s[12:13] offset:28
	v_mul_lo_u16_e32 v17, 14, v63
	v_sub_u16_e32 v65, v10, v17
	v_lshlrev_b32_sdwa v17, v42, v65 dst_sel:DWORD dst_unused:UNUSED_PAD src0_sel:DWORD src1_sel:BYTE_0
	global_load_dword v66, v17, s[12:13] offset:28
	v_lshlrev_b64 v[17:18], 2, v[3:4]
	v_add_u32_e32 v4, -12, v3
	v_add_co_u32_e64 v17, s[0:1], s12, v17
	v_addc_co_u32_e64 v18, s[0:1], v41, v18, s[0:1]
	v_cmp_gt_u32_e64 s[0:1], 28, v11
	v_cndmask_b32_e64 v15, v4, v11, s[0:1]
	ds_read_u16 v4, v21 offset:224
	ds_read_u16 v68, v21 offset:256
	;; [unrolled: 1-line block ×7, first 2 shown]
	ds_read_u16 v74, v0
	v_lshlrev_b64 v[19:20], 2, v[15:16]
	v_mad_u32_u24 v33, v33, 56, 0
	v_add_co_u32_e64 v19, s[0:1], s12, v19
	v_addc_co_u32_e64 v20, s[0:1], v41, v20, s[0:1]
	v_cmp_lt_u32_e64 s[0:1], 13, v3
	v_lshlrev_b32_sdwa v35, v34, v35 dst_sel:DWORD dst_unused:UNUSED_PAD src0_sel:DWORD src1_sel:BYTE_0
	v_add3_u32 v33, v33, v35, v28
	v_mad_u32_u24 v31, v31, 56, 0
	v_lshlrev_b32_sdwa v32, v34, v32 dst_sel:DWORD dst_unused:UNUSED_PAD src0_sel:DWORD src1_sel:BYTE_0
	v_add3_u32 v31, v31, v32, v28
	s_waitcnt vmcnt(6) lgkmcnt(7)
	v_mul_f16_sdwa v75, v4, v39 dst_sel:DWORD dst_unused:UNUSED_PAD src0_sel:DWORD src1_sel:WORD_1
	v_fma_f16 v75, v53, v39, -v75
	v_mul_f16_sdwa v53, v53, v39 dst_sel:DWORD dst_unused:UNUSED_PAD src0_sel:DWORD src1_sel:WORD_1
	v_fma_f16 v4, v4, v39, v53
	s_waitcnt vmcnt(5) lgkmcnt(6)
	v_mul_f16_sdwa v39, v68, v43 dst_sel:DWORD dst_unused:UNUSED_PAD src0_sel:DWORD src1_sel:WORD_1
	v_mul_f16_sdwa v53, v54, v43 dst_sel:DWORD dst_unused:UNUSED_PAD src0_sel:DWORD src1_sel:WORD_1
	v_fma_f16 v39, v54, v43, -v39
	v_fma_f16 v43, v68, v43, v53
	s_waitcnt vmcnt(4) lgkmcnt(5)
	v_mul_f16_sdwa v53, v69, v44 dst_sel:DWORD dst_unused:UNUSED_PAD src0_sel:DWORD src1_sel:WORD_1
	v_mul_f16_sdwa v54, v55, v44 dst_sel:DWORD dst_unused:UNUSED_PAD src0_sel:DWORD src1_sel:WORD_1
	v_fma_f16 v53, v55, v44, -v53
	v_fma_f16 v44, v69, v44, v54
	s_waitcnt vmcnt(3) lgkmcnt(4)
	v_mul_f16_sdwa v54, v70, v60 dst_sel:DWORD dst_unused:UNUSED_PAD src0_sel:DWORD src1_sel:WORD_1
	v_fma_f16 v54, v56, v60, -v54
	v_mul_f16_sdwa v55, v56, v60 dst_sel:DWORD dst_unused:UNUSED_PAD src0_sel:DWORD src1_sel:WORD_1
	s_waitcnt vmcnt(2) lgkmcnt(3)
	v_mul_f16_sdwa v56, v71, v62 dst_sel:DWORD dst_unused:UNUSED_PAD src0_sel:DWORD src1_sel:WORD_1
	v_fma_f16 v55, v70, v60, v55
	v_fma_f16 v56, v57, v62, -v56
	v_mul_f16_sdwa v57, v57, v62 dst_sel:DWORD dst_unused:UNUSED_PAD src0_sel:DWORD src1_sel:WORD_1
	s_waitcnt vmcnt(1) lgkmcnt(2)
	v_mul_f16_sdwa v60, v72, v64 dst_sel:DWORD dst_unused:UNUSED_PAD src0_sel:DWORD src1_sel:WORD_1
	v_fma_f16 v57, v71, v62, v57
	;; [unrolled: 5-line block ×3, first 2 shown]
	v_fma_f16 v62, v59, v66, -v62
	v_mul_f16_sdwa v59, v59, v66 dst_sel:DWORD dst_unused:UNUSED_PAD src0_sel:DWORD src1_sel:WORD_1
	v_cndmask_b32_e64 v64, 0, 56, s[0:1]
	v_fma_f16 v59, v73, v66, v59
	v_add_u32_e32 v64, 0, v64
	v_sub_f16_e32 v66, v52, v75
	v_sub_f16_e32 v35, v45, v39
	v_add3_u32 v64, v64, v67, v28
	v_fma_f16 v52, v52, 2.0, -v66
	v_fma_f16 v39, v45, 2.0, -v35
	v_sub_f16_e32 v32, v47, v53
	ds_read_u16 v67, v22
	ds_read_u16 v68, v23
	;; [unrolled: 1-line block ×6, first 2 shown]
	s_waitcnt lgkmcnt(0)
	; wave barrier
	s_waitcnt lgkmcnt(0)
	ds_write_b16 v64, v52
	ds_write_b16 v64, v66 offset:28
	ds_write_b16 v33, v39
	ds_write_b16 v33, v35 offset:28
	v_fma_f16 v35, v47, 2.0, -v32
	ds_write_b16 v31, v35
	ds_write_b16 v31, v32 offset:28
	v_mad_u32_u24 v32, v36, 56, 0
	v_lshlrev_b32_sdwa v35, v34, v37 dst_sel:DWORD dst_unused:UNUSED_PAD src0_sel:DWORD src1_sel:BYTE_0
	v_add3_u32 v32, v32, v35, v28
	v_sub_f16_e32 v35, v48, v54
	v_fma_f16 v36, v48, 2.0, -v35
	ds_write_b16 v32, v36
	ds_write_b16 v32, v35 offset:28
	v_mad_u32_u24 v35, v38, 56, 0
	v_lshlrev_b32_sdwa v36, v34, v40 dst_sel:DWORD dst_unused:UNUSED_PAD src0_sel:DWORD src1_sel:BYTE_0
	v_add3_u32 v35, v35, v36, v28
	v_sub_f16_e32 v36, v49, v56
	;; [unrolled: 7-line block ×4, first 2 shown]
	v_fma_f16 v39, v51, 2.0, -v38
	v_sub_f16_e32 v4, v74, v4
	ds_write_b16 v37, v39
	ds_write_b16 v37, v38 offset:28
	v_fma_f16 v38, v74, 2.0, -v4
	s_waitcnt lgkmcnt(0)
	; wave barrier
	s_waitcnt lgkmcnt(0)
	ds_read_u16 v39, v22
	ds_read_u16 v40, v23
	;; [unrolled: 1-line block ×7, first 2 shown]
	ds_read_u16 v50, v21 offset:224
	ds_read_u16 v51, v21 offset:256
	;; [unrolled: 1-line block ×7, first 2 shown]
	s_waitcnt lgkmcnt(0)
	; wave barrier
	s_waitcnt lgkmcnt(0)
	ds_write_b16 v64, v38
	ds_write_b16 v64, v4 offset:28
	v_sub_f16_e32 v4, v67, v43
	v_fma_f16 v38, v67, 2.0, -v4
	ds_write_b16 v33, v38
	ds_write_b16 v33, v4 offset:28
	v_sub_f16_e32 v4, v68, v44
	v_fma_f16 v33, v68, 2.0, -v4
	;; [unrolled: 4-line block ×6, first 2 shown]
	ds_write_b16 v37, v31
	ds_write_b16 v37, v4 offset:28
	v_lshrrev_b16_sdwa v4, v42, v8 dst_sel:DWORD dst_unused:UNUSED_PAD src0_sel:DWORD src1_sel:BYTE_0
	v_lshrrev_b16_sdwa v32, v42, v10 dst_sel:DWORD dst_unused:UNUSED_PAD src0_sel:DWORD src1_sel:BYTE_0
	v_mul_lo_u16_e32 v4, 37, v4
	v_mov_b32_e32 v31, 28
	v_mul_lo_u16_e32 v32, 37, v32
	v_mul_lo_u16_sdwa v4, v4, v31 dst_sel:DWORD dst_unused:UNUSED_PAD src0_sel:BYTE_1 src1_sel:DWORD
	v_mul_lo_u16_sdwa v31, v32, v31 dst_sel:DWORD dst_unused:UNUSED_PAD src0_sel:BYTE_1 src1_sel:DWORD
	v_lshrrev_b16_sdwa v32, v42, v9 dst_sel:DWORD dst_unused:UNUSED_PAD src0_sel:DWORD src1_sel:BYTE_0
	v_mul_lo_u16_e32 v32, 37, v32
	v_lshrrev_b16_e32 v32, 8, v32
	v_sub_u16_e32 v4, v8, v4
	v_mul_lo_u16_e32 v33, 28, v32
	v_sub_u16_e32 v31, v10, v31
	v_and_b32_e32 v4, 0xff, v4
	v_sub_u16_e32 v33, v9, v33
	v_and_b32_e32 v31, 0xff, v31
	s_waitcnt lgkmcnt(0)
	; wave barrier
	s_waitcnt lgkmcnt(0)
	v_lshlrev_b32_sdwa v35, v42, v33 dst_sel:DWORD dst_unused:UNUSED_PAD src0_sel:DWORD src1_sel:BYTE_0
	v_lshlrev_b32_e32 v36, 2, v4
	v_lshlrev_b32_e32 v37, 2, v31
	global_load_dword v38, v[17:18], off offset:84
	global_load_dword v43, v36, s[12:13] offset:84
	global_load_dword v44, v35, s[12:13] offset:84
	;; [unrolled: 1-line block ×3, first 2 shown]
	global_load_dword v57, v[19:20], off offset:84
	global_load_dword v58, v[17:18], off offset:100
	v_lshrrev_b16_sdwa v19, v42, v7 dst_sel:DWORD dst_unused:UNUSED_PAD src0_sel:DWORD src1_sel:BYTE_0
	v_mul_lo_u16_e32 v19, 37, v19
	v_lshrrev_b16_e32 v35, 8, v19
	v_mul_lo_u16_e32 v19, 28, v35
	v_sub_u16_e32 v36, v7, v19
	v_lshlrev_b32_sdwa v19, v42, v36 dst_sel:DWORD dst_unused:UNUSED_PAD src0_sel:DWORD src1_sel:BYTE_0
	global_load_dword v37, v19, s[12:13] offset:84
	v_lshlrev_b64 v[19:20], 2, v[11:12]
	v_lshlrev_b64 v[12:13], 2, v[13:14]
	v_lshlrev_b32_e32 v14, 1, v15
	ds_read_u16 v15, v21 offset:224
	ds_read_u16 v42, v21 offset:256
	;; [unrolled: 1-line block ×7, first 2 shown]
	ds_read_u16 v65, v0
	v_add_co_u32_e64 v19, s[0:1], s12, v19
	v_addc_co_u32_e64 v20, s[0:1], v41, v20, s[0:1]
	v_cmp_lt_u32_e64 s[0:1], 27, v11
	v_lshl_add_u32 v4, v4, 1, v29
	v_mad_u32_u24 v32, v32, s4, 0
	v_lshl_add_u32 v29, v31, 1, v29
	s_waitcnt vmcnt(6) lgkmcnt(7)
	v_mul_f16_sdwa v66, v15, v38 dst_sel:DWORD dst_unused:UNUSED_PAD src0_sel:DWORD src1_sel:WORD_1
	v_fma_f16 v66, v50, v38, -v66
	v_mul_f16_sdwa v50, v50, v38 dst_sel:DWORD dst_unused:UNUSED_PAD src0_sel:DWORD src1_sel:WORD_1
	v_fma_f16 v15, v15, v38, v50
	s_waitcnt vmcnt(2)
	v_mul_f16_sdwa v50, v51, v57 dst_sel:DWORD dst_unused:UNUSED_PAD src0_sel:DWORD src1_sel:WORD_1
	s_waitcnt lgkmcnt(6)
	v_mul_f16_sdwa v38, v42, v57 dst_sel:DWORD dst_unused:UNUSED_PAD src0_sel:DWORD src1_sel:WORD_1
	v_fma_f16 v42, v42, v57, v50
	s_waitcnt vmcnt(1) lgkmcnt(5)
	v_mul_f16_sdwa v50, v59, v58 dst_sel:DWORD dst_unused:UNUSED_PAD src0_sel:DWORD src1_sel:WORD_1
	v_fma_f16 v38, v51, v57, -v38
	v_fma_f16 v50, v52, v58, -v50
	v_mul_f16_sdwa v51, v52, v58 dst_sel:DWORD dst_unused:UNUSED_PAD src0_sel:DWORD src1_sel:WORD_1
	v_mul_f16_sdwa v57, v60, v55 dst_sel:DWORD dst_unused:UNUSED_PAD src0_sel:DWORD src1_sel:WORD_1
	s_waitcnt vmcnt(0) lgkmcnt(4)
	v_mul_f16_sdwa v52, v61, v37 dst_sel:DWORD dst_unused:UNUSED_PAD src0_sel:DWORD src1_sel:WORD_1
	v_fma_f16 v52, v53, v37, -v52
	v_mul_f16_sdwa v53, v53, v37 dst_sel:DWORD dst_unused:UNUSED_PAD src0_sel:DWORD src1_sel:WORD_1
	v_fma_f16 v37, v61, v37, v53
	s_waitcnt lgkmcnt(3)
	v_mul_f16_sdwa v53, v62, v43 dst_sel:DWORD dst_unused:UNUSED_PAD src0_sel:DWORD src1_sel:WORD_1
	v_fma_f16 v53, v54, v43, -v53
	v_mul_f16_sdwa v54, v54, v43 dst_sel:DWORD dst_unused:UNUSED_PAD src0_sel:DWORD src1_sel:WORD_1
	v_fma_f16 v43, v62, v43, v54
	s_waitcnt lgkmcnt(2)
	;; [unrolled: 5-line block ×3, first 2 shown]
	v_mul_f16_sdwa v56, v64, v55 dst_sel:DWORD dst_unused:UNUSED_PAD src0_sel:DWORD src1_sel:WORD_1
	v_fma_f16 v56, v60, v55, -v56
	v_fma_f16 v55, v64, v55, v57
	v_mov_b32_e32 v57, 0x70
	v_cndmask_b32_e64 v11, 0, v57, s[0:1]
	v_add_u32_e32 v11, 0, v11
	v_fma_f16 v51, v59, v58, v51
	v_sub_f16_e32 v58, v49, v66
	v_add3_u32 v11, v11, v14, v28
	v_sub_f16_e32 v14, v39, v38
	v_fma_f16 v49, v49, 2.0, -v58
	v_fma_f16 v38, v39, 2.0, -v14
	ds_read_u16 v59, v22
	ds_read_u16 v60, v23
	;; [unrolled: 1-line block ×6, first 2 shown]
	s_waitcnt lgkmcnt(0)
	; wave barrier
	s_waitcnt lgkmcnt(0)
	ds_write_b16 v21, v49
	ds_write_b16 v21, v58 offset:56
	ds_write_b16 v11, v38
	ds_write_b16 v11, v14 offset:56
	v_sub_f16_e32 v14, v40, v50
	v_fma_f16 v38, v40, 2.0, -v14
	v_add3_u32 v39, 0, v30, v28
	ds_write_b16 v39, v38 offset:120
	ds_write_b16 v39, v14 offset:176
	v_mad_u32_u24 v14, v35, s4, 0
	v_lshlrev_b32_sdwa v30, v34, v36 dst_sel:DWORD dst_unused:UNUSED_PAD src0_sel:DWORD src1_sel:BYTE_0
	v_add3_u32 v14, v14, v30, v28
	v_sub_f16_e32 v30, v45, v52
	v_fma_f16 v35, v45, 2.0, -v30
	ds_write_b16 v14, v35
	ds_write_b16 v14, v30 offset:56
	v_sub_f16_e32 v30, v46, v53
	v_fma_f16 v35, v46, 2.0, -v30
	ds_write_b16 v4, v35 offset:224
	ds_write_b16 v4, v30 offset:280
	v_lshlrev_b32_sdwa v30, v34, v33 dst_sel:DWORD dst_unused:UNUSED_PAD src0_sel:DWORD src1_sel:BYTE_0
	v_add3_u32 v30, v32, v30, v28
	v_sub_f16_e32 v32, v47, v54
	v_fma_f16 v33, v47, 2.0, -v32
	v_sub_f16_e32 v31, v48, v56
	ds_write_b16 v30, v33
	ds_write_b16 v30, v32 offset:56
	v_fma_f16 v32, v48, 2.0, -v31
	v_sub_f16_e32 v15, v65, v15
	ds_write_b16 v29, v32 offset:336
	ds_write_b16 v29, v31 offset:392
	v_fma_f16 v31, v65, 2.0, -v15
	s_waitcnt lgkmcnt(0)
	; wave barrier
	s_waitcnt lgkmcnt(0)
	ds_read_u16 v32, v22
	ds_read_u16 v33, v23
	;; [unrolled: 1-line block ×7, first 2 shown]
	ds_read_u16 v45, v21 offset:224
	ds_read_u16 v46, v21 offset:256
	ds_read_u16 v47, v21 offset:288
	ds_read_u16 v48, v21 offset:320
	ds_read_u16 v49, v21 offset:352
	ds_read_u16 v50, v21 offset:384
	ds_read_u16 v52, v21 offset:416
	s_waitcnt lgkmcnt(0)
	; wave barrier
	s_waitcnt lgkmcnt(0)
	ds_write_b16 v21, v31
	ds_write_b16 v21, v15 offset:56
	v_sub_f16_e32 v15, v59, v42
	v_fma_f16 v31, v59, 2.0, -v15
	ds_write_b16 v11, v31
	ds_write_b16 v11, v15 offset:56
	v_sub_f16_e32 v11, v60, v51
	v_fma_f16 v15, v60, 2.0, -v11
	ds_write_b16 v39, v15 offset:120
	ds_write_b16 v39, v11 offset:176
	v_sub_f16_e32 v11, v61, v37
	v_fma_f16 v15, v61, 2.0, -v11
	ds_write_b16 v14, v15
	ds_write_b16 v14, v11 offset:56
	v_sub_f16_e32 v11, v62, v43
	v_fma_f16 v14, v62, 2.0, -v11
	ds_write_b16 v4, v14 offset:224
	ds_write_b16 v4, v11 offset:280
	v_sub_f16_e32 v4, v63, v44
	v_fma_f16 v11, v63, 2.0, -v4
	ds_write_b16 v30, v11
	ds_write_b16 v30, v4 offset:56
	v_sub_f16_e32 v4, v64, v55
	v_fma_f16 v11, v64, 2.0, -v4
	v_add_co_u32_e64 v12, s[0:1], s12, v12
	ds_write_b16 v29, v11 offset:336
	ds_write_b16 v29, v4 offset:392
	s_waitcnt lgkmcnt(0)
	; wave barrier
	s_waitcnt lgkmcnt(0)
	global_load_dword v4, v[17:18], off offset:196
	v_addc_co_u32_e64 v13, s[0:1], v41, v13, s[0:1]
	v_add_u32_e32 v11, -8, v3
	v_cmp_gt_u32_e64 s[0:1], 56, v7
	global_load_dword v14, v[12:13], off offset:196
	global_load_dword v31, v[19:20], off offset:196
	v_cndmask_b32_e64 v15, v11, v7, s[0:1]
	v_lshlrev_b64 v[29:30], 2, v[15:16]
	v_lshlrev_b32_e32 v15, 1, v15
	v_add_co_u32_e64 v29, s[0:1], s12, v29
	v_addc_co_u32_e64 v30, s[0:1], v41, v30, s[0:1]
	global_load_dword v11, v[29:30], off offset:196
	global_load_dword v37, v[17:18], off offset:228
	;; [unrolled: 1-line block ×4, first 2 shown]
	ds_read_u16 v29, v21 offset:224
	ds_read_u16 v30, v21 offset:256
	ds_read_u16 v43, v21 offset:288
	ds_read_u16 v44, v21 offset:320
	ds_read_u16 v51, v21 offset:352
	ds_read_u16 v53, v21 offset:384
	ds_read_u16 v54, v21 offset:416
	ds_read_u16 v55, v0
	v_cmp_lt_u32_e64 s[0:1], 55, v7
	s_waitcnt vmcnt(6) lgkmcnt(7)
	v_mul_f16_sdwa v56, v29, v4 dst_sel:DWORD dst_unused:UNUSED_PAD src0_sel:DWORD src1_sel:WORD_1
	v_fma_f16 v56, v45, v4, -v56
	v_mul_f16_sdwa v45, v45, v4 dst_sel:DWORD dst_unused:UNUSED_PAD src0_sel:DWORD src1_sel:WORD_1
	v_fma_f16 v4, v29, v4, v45
	s_waitcnt vmcnt(4) lgkmcnt(6)
	v_mul_f16_sdwa v29, v30, v31 dst_sel:DWORD dst_unused:UNUSED_PAD src0_sel:DWORD src1_sel:WORD_1
	v_mul_f16_sdwa v45, v46, v31 dst_sel:DWORD dst_unused:UNUSED_PAD src0_sel:DWORD src1_sel:WORD_1
	v_fma_f16 v29, v46, v31, -v29
	v_fma_f16 v45, v30, v31, v45
	s_waitcnt lgkmcnt(5)
	v_mul_f16_sdwa v30, v43, v14 dst_sel:DWORD dst_unused:UNUSED_PAD src0_sel:DWORD src1_sel:WORD_1
	v_mul_f16_sdwa v31, v47, v14 dst_sel:DWORD dst_unused:UNUSED_PAD src0_sel:DWORD src1_sel:WORD_1
	v_fma_f16 v30, v47, v14, -v30
	v_fma_f16 v43, v43, v14, v31
	s_waitcnt vmcnt(3) lgkmcnt(4)
	v_mul_f16_sdwa v14, v44, v11 dst_sel:DWORD dst_unused:UNUSED_PAD src0_sel:DWORD src1_sel:WORD_1
	v_mul_f16_sdwa v31, v48, v11 dst_sel:DWORD dst_unused:UNUSED_PAD src0_sel:DWORD src1_sel:WORD_1
	v_fma_f16 v14, v48, v11, -v14
	v_fma_f16 v11, v44, v11, v31
	s_waitcnt vmcnt(2) lgkmcnt(3)
	;; [unrolled: 5-line block ×4, first 2 shown]
	v_mul_f16_sdwa v46, v54, v42 dst_sel:DWORD dst_unused:UNUSED_PAD src0_sel:DWORD src1_sel:WORD_1
	v_mul_f16_sdwa v47, v52, v42 dst_sel:DWORD dst_unused:UNUSED_PAD src0_sel:DWORD src1_sel:WORD_1
	v_fma_f16 v46, v52, v42, -v46
	v_fma_f16 v42, v54, v42, v47
	v_mov_b32_e32 v47, 0xe0
	v_cndmask_b32_e64 v47, 0, v47, s[0:1]
	v_add_u32_e32 v47, 0, v47
	v_add3_u32 v47, v47, v15, v28
	v_sub_f16_e32 v15, v40, v56
	v_fma_f16 v28, v40, 2.0, -v15
	ds_read_u16 v40, v22
	ds_read_u16 v48, v23
	;; [unrolled: 1-line block ×6, first 2 shown]
	s_waitcnt lgkmcnt(0)
	; wave barrier
	s_waitcnt lgkmcnt(0)
	ds_write_b16 v21, v28
	ds_write_b16 v21, v15 offset:112
	v_sub_f16_e32 v15, v32, v29
	v_fma_f16 v28, v32, 2.0, -v15
	ds_write_b16 v22, v28
	ds_write_b16 v22, v15 offset:112
	v_sub_f16_e32 v15, v33, v30
	v_fma_f16 v28, v33, 2.0, -v15
	v_sub_f16_e32 v14, v34, v14
	ds_write_b16 v23, v28
	ds_write_b16 v23, v15 offset:112
	v_fma_f16 v15, v34, 2.0, -v14
	ds_write_b16 v47, v15
	ds_write_b16 v47, v14 offset:112
	v_sub_f16_e32 v14, v35, v31
	v_fma_f16 v15, v35, 2.0, -v14
	ds_write_b16 v39, v15 offset:240
	ds_write_b16 v39, v14 offset:352
	v_sub_f16_e32 v14, v36, v37
	v_fma_f16 v15, v36, 2.0, -v14
	ds_write_b16 v39, v15 offset:272
	;; [unrolled: 4-line block ×3, first 2 shown]
	ds_write_b16 v39, v14 offset:416
	v_sub_f16_e32 v46, v55, v4
	s_waitcnt lgkmcnt(0)
	; wave barrier
	s_waitcnt lgkmcnt(0)
	ds_read_u16 v15, v22
	ds_read_u16 v28, v23
	;; [unrolled: 1-line block ×7, first 2 shown]
	ds_read_u16 v14, v21 offset:224
	ds_read_u16 v30, v21 offset:256
	;; [unrolled: 1-line block ×7, first 2 shown]
	v_sub_f16_e32 v45, v40, v45
	v_fma_f16 v53, v55, 2.0, -v46
	v_fma_f16 v40, v40, 2.0, -v45
	s_waitcnt lgkmcnt(0)
	; wave barrier
	s_waitcnt lgkmcnt(0)
	ds_write_b16 v21, v53
	ds_write_b16 v21, v46 offset:112
	ds_write_b16 v22, v40
	ds_write_b16 v22, v45 offset:112
	v_sub_f16_e32 v40, v48, v43
	v_fma_f16 v43, v48, 2.0, -v40
	v_sub_f16_e32 v11, v49, v11
	ds_write_b16 v23, v43
	ds_write_b16 v23, v40 offset:112
	v_fma_f16 v40, v49, 2.0, -v11
	ds_write_b16 v47, v40
	ds_write_b16 v47, v11 offset:112
	v_sub_f16_e32 v11, v50, v44
	v_fma_f16 v40, v50, 2.0, -v11
	ds_write_b16 v39, v40 offset:240
	ds_write_b16 v39, v11 offset:352
	v_sub_f16_e32 v11, v51, v41
	v_fma_f16 v40, v51, 2.0, -v11
	ds_write_b16 v39, v40 offset:272
	ds_write_b16 v39, v11 offset:384
	v_sub_f16_e32 v11, v52, v42
	v_fma_f16 v40, v52, 2.0, -v11
	s_movk_i32 s0, 0xe0
	ds_write_b16 v39, v40 offset:304
	ds_write_b16 v39, v11 offset:416
	s_waitcnt lgkmcnt(0)
	; wave barrier
	s_waitcnt lgkmcnt(0)
	s_and_saveexec_b64 s[6:7], vcc
	s_cbranch_execz .LBB0_15
; %bb.14:
	v_mov_b32_e32 v11, v16
	v_lshlrev_b64 v[10:11], 2, v[10:11]
	v_mov_b32_e32 v43, s13
	v_add_co_u32_e32 v39, vcc, s12, v10
	v_mov_b32_e32 v10, v16
	v_lshlrev_b64 v[9:10], 2, v[9:10]
	v_addc_co_u32_e32 v40, vcc, v43, v11, vcc
	v_add_co_u32_e32 v41, vcc, s12, v9
	v_mov_b32_e32 v9, v16
	v_lshlrev_b64 v[8:9], 2, v[8:9]
	v_addc_co_u32_e32 v42, vcc, v43, v10, vcc
	v_add_co_u32_e32 v8, vcc, s12, v8
	v_addc_co_u32_e32 v9, vcc, v43, v9, vcc
	global_load_dword v10, v[39:40], off offset:420
	global_load_dword v11, v[41:42], off offset:420
	global_load_dword v44, v[8:9], off offset:420
	v_mov_b32_e32 v8, v16
	v_lshlrev_b64 v[7:8], 2, v[7:8]
	s_mov_b32 s1, 0x24924925
	v_add_co_u32_e32 v7, vcc, s12, v7
	v_addc_co_u32_e32 v8, vcc, v43, v8, vcc
	global_load_dword v9, v[7:8], off offset:420
	global_load_dword v39, v[12:13], off offset:420
	;; [unrolled: 1-line block ×4, first 2 shown]
	v_mul_lo_u32 v7, s3, v5
	v_mul_lo_u32 v8, s2, v6
	v_mad_u64_u32 v[5:6], s[2:3], s2, v5, 0
	ds_read_u16 v12, v21 offset:416
	ds_read_u16 v13, v21 offset:384
	;; [unrolled: 1-line block ×6, first 2 shown]
	ds_read_u16 v27, v27
	ds_read_u16 v26, v26
	;; [unrolled: 1-line block ×6, first 2 shown]
	ds_read_u16 v21, v21 offset:224
	ds_read_u16 v0, v0
	v_add3_u32 v6, v6, v8, v7
	s_waitcnt vmcnt(6) lgkmcnt(13)
	v_mul_f16_sdwa v7, v12, v10 dst_sel:DWORD dst_unused:UNUSED_PAD src0_sel:DWORD src1_sel:WORD_1
	v_mul_f16_sdwa v8, v38, v10 dst_sel:DWORD dst_unused:UNUSED_PAD src0_sel:DWORD src1_sel:WORD_1
	s_waitcnt vmcnt(5) lgkmcnt(12)
	v_mul_f16_sdwa v42, v13, v11 dst_sel:DWORD dst_unused:UNUSED_PAD src0_sel:DWORD src1_sel:WORD_1
	v_mul_f16_sdwa v43, v37, v11 dst_sel:DWORD dst_unused:UNUSED_PAD src0_sel:DWORD src1_sel:WORD_1
	s_waitcnt vmcnt(4)
	v_mul_f16_sdwa v46, v36, v44 dst_sel:DWORD dst_unused:UNUSED_PAD src0_sel:DWORD src1_sel:WORD_1
	s_waitcnt lgkmcnt(11)
	v_mul_f16_sdwa v45, v17, v44 dst_sel:DWORD dst_unused:UNUSED_PAD src0_sel:DWORD src1_sel:WORD_1
	v_fma_f16 v7, v38, v10, -v7
	s_waitcnt vmcnt(3) lgkmcnt(10)
	v_mul_f16_sdwa v47, v18, v9 dst_sel:DWORD dst_unused:UNUSED_PAD src0_sel:DWORD src1_sel:WORD_1
	v_mul_f16_sdwa v48, v35, v9 dst_sel:DWORD dst_unused:UNUSED_PAD src0_sel:DWORD src1_sel:WORD_1
	s_waitcnt vmcnt(2) lgkmcnt(9)
	v_mul_f16_sdwa v49, v19, v39 dst_sel:DWORD dst_unused:UNUSED_PAD src0_sel:DWORD src1_sel:WORD_1
	v_mul_f16_sdwa v50, v34, v39 dst_sel:DWORD dst_unused:UNUSED_PAD src0_sel:DWORD src1_sel:WORD_1
	v_fma_f16 v8, v10, v12, v8
	v_fma_f16 v10, v37, v11, -v42
	v_fma_f16 v11, v11, v13, v43
	v_fma_f16 v13, v44, v17, v46
	v_fma_f16 v17, v35, v9, -v47
	v_fma_f16 v9, v9, v18, v48
	v_fma_f16 v18, v34, v39, -v49
	s_waitcnt vmcnt(1) lgkmcnt(8)
	v_mul_f16_sdwa v34, v20, v40 dst_sel:DWORD dst_unused:UNUSED_PAD src0_sel:DWORD src1_sel:WORD_1
	v_fma_f16 v34, v30, v40, -v34
	v_mul_f16_sdwa v30, v30, v40 dst_sel:DWORD dst_unused:UNUSED_PAD src0_sel:DWORD src1_sel:WORD_1
	v_fma_f16 v20, v40, v20, v30
	s_waitcnt vmcnt(0) lgkmcnt(1)
	v_mul_f16_sdwa v30, v21, v41 dst_sel:DWORD dst_unused:UNUSED_PAD src0_sel:DWORD src1_sel:WORD_1
	v_fma_f16 v30, v14, v41, -v30
	v_lshrrev_b32_e32 v35, 4, v3
	v_sub_f16_e32 v30, v4, v30
	v_fma_f16 v12, v36, v44, -v45
	v_mul_hi_u32 v35, v35, s1
	v_fma_f16 v36, v4, 2.0, -v30
	v_mul_f16_sdwa v4, v14, v41 dst_sel:DWORD dst_unused:UNUSED_PAD src0_sel:DWORD src1_sel:WORD_1
	v_fma_f16 v4, v41, v21, v4
	s_waitcnt lgkmcnt(0)
	v_sub_f16_e32 v21, v0, v4
	v_lshlrev_b64 v[4:5], 2, v[5:6]
	v_mul_lo_u32 v14, v35, s4
	v_fma_f16 v35, v0, 2.0, -v21
	v_mov_b32_e32 v0, s11
	v_add_co_u32_e32 v4, vcc, s10, v4
	v_addc_co_u32_e32 v5, vcc, v0, v5, vcc
	v_lshlrev_b64 v[0:1], 2, v[1:2]
	v_add_u32_e32 v2, 16, v3
	v_lshrrev_b32_e32 v6, 4, v2
	v_mul_hi_u32 v6, v6, s1
	v_add_co_u32_e32 v37, vcc, v4, v0
	v_sub_u32_e32 v14, v3, v14
	v_mul_lo_u32 v4, v6, s4
	v_addc_co_u32_e32 v38, vcc, v5, v1, vcc
	v_lshlrev_b32_e32 v0, 2, v14
	v_add_co_u32_e32 v0, vcc, v37, v0
	v_addc_co_u32_e32 v1, vcc, 0, v38, vcc
	v_pack_b32_f16 v5, v36, v35
	v_sub_u32_e32 v2, v2, v4
	global_store_dword v[0:1], v5, off
	v_mad_u64_u32 v[4:5], s[2:3], v6, s0, v[2:3]
	v_pack_b32_f16 v2, v30, v21
	v_mov_b32_e32 v5, v16
	global_store_dword v[0:1], v2, off offset:448
	v_lshlrev_b64 v[0:1], 2, v[4:5]
	v_add_u32_e32 v5, 32, v3
	v_lshrrev_b32_e32 v6, 4, v5
	v_mul_hi_u32 v6, v6, s1
	v_sub_f16_e32 v34, v15, v34
	v_sub_f16_e32 v20, v22, v20
	v_fma_f16 v15, v15, 2.0, -v34
	v_fma_f16 v22, v22, 2.0, -v20
	v_add_co_u32_e32 v0, vcc, v37, v0
	v_addc_co_u32_e32 v1, vcc, v38, v1, vcc
	v_pack_b32_f16 v2, v15, v22
	global_store_dword v[0:1], v2, off
	v_mul_lo_u32 v2, v6, s4
	v_add_u32_e32 v15, 0x70, v4
	v_lshlrev_b64 v[0:1], 2, v[15:16]
	v_fma_f16 v19, v39, v19, v50
	v_sub_u32_e32 v2, v5, v2
	v_mad_u64_u32 v[4:5], s[2:3], v6, s0, v[2:3]
	v_add_co_u32_e32 v0, vcc, v37, v0
	v_addc_co_u32_e32 v1, vcc, v38, v1, vcc
	v_pack_b32_f16 v2, v34, v20
	v_mov_b32_e32 v5, v16
	global_store_dword v[0:1], v2, off
	v_lshlrev_b64 v[0:1], 2, v[4:5]
	v_add_u32_e32 v5, 48, v3
	v_lshrrev_b32_e32 v6, 4, v5
	v_mul_hi_u32 v6, v6, s1
	v_sub_f16_e32 v18, v28, v18
	v_sub_f16_e32 v19, v23, v19
	v_fma_f16 v28, v28, 2.0, -v18
	v_fma_f16 v23, v23, 2.0, -v19
	v_add_co_u32_e32 v0, vcc, v37, v0
	v_addc_co_u32_e32 v1, vcc, v38, v1, vcc
	v_pack_b32_f16 v2, v28, v23
	global_store_dword v[0:1], v2, off
	v_mul_lo_u32 v2, v6, s4
	v_add_u32_e32 v15, 0x70, v4
	v_lshlrev_b64 v[0:1], 2, v[15:16]
	v_sub_f16_e32 v17, v29, v17
	v_sub_u32_e32 v2, v5, v2
	v_mad_u64_u32 v[4:5], s[2:3], v6, s0, v[2:3]
	v_add_co_u32_e32 v0, vcc, v37, v0
	v_addc_co_u32_e32 v1, vcc, v38, v1, vcc
	v_pack_b32_f16 v2, v18, v19
	v_mov_b32_e32 v5, v16
	global_store_dword v[0:1], v2, off
	v_lshlrev_b64 v[0:1], 2, v[4:5]
	v_add_u32_e32 v5, 64, v3
	v_lshrrev_b32_e32 v6, 4, v5
	v_mul_hi_u32 v6, v6, s1
	v_sub_f16_e32 v9, v24, v9
	v_fma_f16 v29, v29, 2.0, -v17
	v_fma_f16 v24, v24, 2.0, -v9
	v_add_co_u32_e32 v0, vcc, v37, v0
	v_addc_co_u32_e32 v1, vcc, v38, v1, vcc
	v_pack_b32_f16 v2, v29, v24
	global_store_dword v[0:1], v2, off
	v_mul_lo_u32 v2, v6, s4
	v_add_u32_e32 v15, 0x70, v4
	v_lshlrev_b64 v[0:1], 2, v[15:16]
	v_sub_f16_e32 v12, v31, v12
	v_sub_u32_e32 v2, v5, v2
	v_mad_u64_u32 v[4:5], s[2:3], v6, s0, v[2:3]
	v_add_co_u32_e32 v0, vcc, v37, v0
	v_addc_co_u32_e32 v1, vcc, v38, v1, vcc
	v_pack_b32_f16 v2, v17, v9
	v_mov_b32_e32 v5, v16
	global_store_dword v[0:1], v2, off
	v_lshlrev_b64 v[0:1], 2, v[4:5]
	v_add_u32_e32 v5, 0x50, v3
	v_lshrrev_b32_e32 v6, 4, v5
	v_mul_hi_u32 v6, v6, s1
	v_sub_f16_e32 v13, v25, v13
	v_fma_f16 v31, v31, 2.0, -v12
	v_fma_f16 v25, v25, 2.0, -v13
	v_add_co_u32_e32 v0, vcc, v37, v0
	v_addc_co_u32_e32 v1, vcc, v38, v1, vcc
	v_pack_b32_f16 v2, v31, v25
	global_store_dword v[0:1], v2, off
	v_mul_lo_u32 v2, v6, s4
	v_add_u32_e32 v15, 0x70, v4
	v_lshlrev_b64 v[0:1], 2, v[15:16]
	v_sub_f16_e32 v10, v32, v10
	v_sub_u32_e32 v2, v5, v2
	v_mad_u64_u32 v[4:5], s[2:3], v6, s0, v[2:3]
	v_add_co_u32_e32 v0, vcc, v37, v0
	v_addc_co_u32_e32 v1, vcc, v38, v1, vcc
	v_pack_b32_f16 v2, v12, v13
	v_mov_b32_e32 v5, v16
	v_add_u32_e32 v3, 0x60, v3
	global_store_dword v[0:1], v2, off
	v_lshlrev_b64 v[0:1], 2, v[4:5]
	v_lshrrev_b32_e32 v5, 4, v3
	v_mul_hi_u32 v5, v5, s1
	v_sub_f16_e32 v11, v26, v11
	v_fma_f16 v32, v32, 2.0, -v10
	v_fma_f16 v26, v26, 2.0, -v11
	v_add_co_u32_e32 v0, vcc, v37, v0
	v_addc_co_u32_e32 v1, vcc, v38, v1, vcc
	v_pack_b32_f16 v2, v32, v26
	global_store_dword v[0:1], v2, off
	v_mul_lo_u32 v2, v5, s4
	v_add_u32_e32 v15, 0x70, v4
	v_lshlrev_b64 v[0:1], 2, v[15:16]
	v_sub_f16_e32 v7, v33, v7
	v_sub_u32_e32 v2, v3, v2
	v_mad_u64_u32 v[2:3], s[0:1], v5, s0, v[2:3]
	v_add_co_u32_e32 v0, vcc, v37, v0
	v_addc_co_u32_e32 v1, vcc, v38, v1, vcc
	v_pack_b32_f16 v3, v10, v11
	global_store_dword v[0:1], v3, off
	v_mov_b32_e32 v3, v16
	v_lshlrev_b64 v[0:1], 2, v[2:3]
	v_sub_f16_e32 v8, v27, v8
	v_fma_f16 v33, v33, 2.0, -v7
	v_fma_f16 v27, v27, 2.0, -v8
	v_add_co_u32_e32 v0, vcc, v37, v0
	v_addc_co_u32_e32 v1, vcc, v38, v1, vcc
	v_pack_b32_f16 v3, v33, v27
	v_add_u32_e32 v15, 0x70, v2
	global_store_dword v[0:1], v3, off
	v_lshlrev_b64 v[0:1], 2, v[15:16]
	v_pack_b32_f16 v2, v7, v8
	v_add_co_u32_e32 v0, vcc, v37, v0
	v_addc_co_u32_e32 v1, vcc, v38, v1, vcc
	global_store_dword v[0:1], v2, off
.LBB0_15:
	s_endpgm
	.section	.rodata,"a",@progbits
	.p2align	6, 0x0
	.amdhsa_kernel fft_rtc_fwd_len224_factors_7_2_2_2_2_2_wgs_64_tpt_16_halfLds_half_op_CI_CI_unitstride_sbrr_dirReg
		.amdhsa_group_segment_fixed_size 0
		.amdhsa_private_segment_fixed_size 0
		.amdhsa_kernarg_size 104
		.amdhsa_user_sgpr_count 6
		.amdhsa_user_sgpr_private_segment_buffer 1
		.amdhsa_user_sgpr_dispatch_ptr 0
		.amdhsa_user_sgpr_queue_ptr 0
		.amdhsa_user_sgpr_kernarg_segment_ptr 1
		.amdhsa_user_sgpr_dispatch_id 0
		.amdhsa_user_sgpr_flat_scratch_init 0
		.amdhsa_user_sgpr_private_segment_size 0
		.amdhsa_uses_dynamic_stack 0
		.amdhsa_system_sgpr_private_segment_wavefront_offset 0
		.amdhsa_system_sgpr_workgroup_id_x 1
		.amdhsa_system_sgpr_workgroup_id_y 0
		.amdhsa_system_sgpr_workgroup_id_z 0
		.amdhsa_system_sgpr_workgroup_info 0
		.amdhsa_system_vgpr_workitem_id 0
		.amdhsa_next_free_vgpr 76
		.amdhsa_next_free_sgpr 28
		.amdhsa_reserve_vcc 1
		.amdhsa_reserve_flat_scratch 0
		.amdhsa_float_round_mode_32 0
		.amdhsa_float_round_mode_16_64 0
		.amdhsa_float_denorm_mode_32 3
		.amdhsa_float_denorm_mode_16_64 3
		.amdhsa_dx10_clamp 1
		.amdhsa_ieee_mode 1
		.amdhsa_fp16_overflow 0
		.amdhsa_exception_fp_ieee_invalid_op 0
		.amdhsa_exception_fp_denorm_src 0
		.amdhsa_exception_fp_ieee_div_zero 0
		.amdhsa_exception_fp_ieee_overflow 0
		.amdhsa_exception_fp_ieee_underflow 0
		.amdhsa_exception_fp_ieee_inexact 0
		.amdhsa_exception_int_div_zero 0
	.end_amdhsa_kernel
	.text
.Lfunc_end0:
	.size	fft_rtc_fwd_len224_factors_7_2_2_2_2_2_wgs_64_tpt_16_halfLds_half_op_CI_CI_unitstride_sbrr_dirReg, .Lfunc_end0-fft_rtc_fwd_len224_factors_7_2_2_2_2_2_wgs_64_tpt_16_halfLds_half_op_CI_CI_unitstride_sbrr_dirReg
                                        ; -- End function
	.section	.AMDGPU.csdata,"",@progbits
; Kernel info:
; codeLenInByte = 9904
; NumSgprs: 32
; NumVgprs: 76
; ScratchSize: 0
; MemoryBound: 0
; FloatMode: 240
; IeeeMode: 1
; LDSByteSize: 0 bytes/workgroup (compile time only)
; SGPRBlocks: 3
; VGPRBlocks: 18
; NumSGPRsForWavesPerEU: 32
; NumVGPRsForWavesPerEU: 76
; Occupancy: 3
; WaveLimiterHint : 1
; COMPUTE_PGM_RSRC2:SCRATCH_EN: 0
; COMPUTE_PGM_RSRC2:USER_SGPR: 6
; COMPUTE_PGM_RSRC2:TRAP_HANDLER: 0
; COMPUTE_PGM_RSRC2:TGID_X_EN: 1
; COMPUTE_PGM_RSRC2:TGID_Y_EN: 0
; COMPUTE_PGM_RSRC2:TGID_Z_EN: 0
; COMPUTE_PGM_RSRC2:TIDIG_COMP_CNT: 0
	.type	__hip_cuid_a22ad523e826be1c,@object ; @__hip_cuid_a22ad523e826be1c
	.section	.bss,"aw",@nobits
	.globl	__hip_cuid_a22ad523e826be1c
__hip_cuid_a22ad523e826be1c:
	.byte	0                               ; 0x0
	.size	__hip_cuid_a22ad523e826be1c, 1

	.ident	"AMD clang version 19.0.0git (https://github.com/RadeonOpenCompute/llvm-project roc-6.4.0 25133 c7fe45cf4b819c5991fe208aaa96edf142730f1d)"
	.section	".note.GNU-stack","",@progbits
	.addrsig
	.addrsig_sym __hip_cuid_a22ad523e826be1c
	.amdgpu_metadata
---
amdhsa.kernels:
  - .args:
      - .actual_access:  read_only
        .address_space:  global
        .offset:         0
        .size:           8
        .value_kind:     global_buffer
      - .offset:         8
        .size:           8
        .value_kind:     by_value
      - .actual_access:  read_only
        .address_space:  global
        .offset:         16
        .size:           8
        .value_kind:     global_buffer
      - .actual_access:  read_only
        .address_space:  global
        .offset:         24
        .size:           8
        .value_kind:     global_buffer
      - .actual_access:  read_only
        .address_space:  global
        .offset:         32
        .size:           8
        .value_kind:     global_buffer
      - .offset:         40
        .size:           8
        .value_kind:     by_value
      - .actual_access:  read_only
        .address_space:  global
        .offset:         48
        .size:           8
        .value_kind:     global_buffer
      - .actual_access:  read_only
        .address_space:  global
        .offset:         56
        .size:           8
        .value_kind:     global_buffer
      - .offset:         64
        .size:           4
        .value_kind:     by_value
      - .actual_access:  read_only
        .address_space:  global
        .offset:         72
        .size:           8
        .value_kind:     global_buffer
      - .actual_access:  read_only
        .address_space:  global
        .offset:         80
        .size:           8
        .value_kind:     global_buffer
      - .actual_access:  read_only
        .address_space:  global
        .offset:         88
        .size:           8
        .value_kind:     global_buffer
      - .actual_access:  write_only
        .address_space:  global
        .offset:         96
        .size:           8
        .value_kind:     global_buffer
    .group_segment_fixed_size: 0
    .kernarg_segment_align: 8
    .kernarg_segment_size: 104
    .language:       OpenCL C
    .language_version:
      - 2
      - 0
    .max_flat_workgroup_size: 64
    .name:           fft_rtc_fwd_len224_factors_7_2_2_2_2_2_wgs_64_tpt_16_halfLds_half_op_CI_CI_unitstride_sbrr_dirReg
    .private_segment_fixed_size: 0
    .sgpr_count:     32
    .sgpr_spill_count: 0
    .symbol:         fft_rtc_fwd_len224_factors_7_2_2_2_2_2_wgs_64_tpt_16_halfLds_half_op_CI_CI_unitstride_sbrr_dirReg.kd
    .uniform_work_group_size: 1
    .uses_dynamic_stack: false
    .vgpr_count:     76
    .vgpr_spill_count: 0
    .wavefront_size: 64
amdhsa.target:   amdgcn-amd-amdhsa--gfx906
amdhsa.version:
  - 1
  - 2
...

	.end_amdgpu_metadata
